;; amdgpu-corpus repo=ROCm/rocFFT kind=compiled arch=gfx1030 opt=O3
	.text
	.amdgcn_target "amdgcn-amd-amdhsa--gfx1030"
	.amdhsa_code_object_version 6
	.protected	fft_rtc_back_len1540_factors_11_2_7_5_2_wgs_154_tpt_154_halfLds_dp_ip_CI_sbrr_dirReg ; -- Begin function fft_rtc_back_len1540_factors_11_2_7_5_2_wgs_154_tpt_154_halfLds_dp_ip_CI_sbrr_dirReg
	.globl	fft_rtc_back_len1540_factors_11_2_7_5_2_wgs_154_tpt_154_halfLds_dp_ip_CI_sbrr_dirReg
	.p2align	8
	.type	fft_rtc_back_len1540_factors_11_2_7_5_2_wgs_154_tpt_154_halfLds_dp_ip_CI_sbrr_dirReg,@function
fft_rtc_back_len1540_factors_11_2_7_5_2_wgs_154_tpt_154_halfLds_dp_ip_CI_sbrr_dirReg: ; @fft_rtc_back_len1540_factors_11_2_7_5_2_wgs_154_tpt_154_halfLds_dp_ip_CI_sbrr_dirReg
; %bb.0:
	s_clause 0x2
	s_load_dwordx2 s[14:15], s[4:5], 0x18
	s_load_dwordx4 s[8:11], s[4:5], 0x0
	s_load_dwordx2 s[12:13], s[4:5], 0x50
	v_mul_u32_u24_e32 v1, 0x1aa, v0
	v_mov_b32_e32 v3, 0
	v_add_nc_u32_sdwa v5, s6, v1 dst_sel:DWORD dst_unused:UNUSED_PAD src0_sel:DWORD src1_sel:WORD_1
	v_mov_b32_e32 v1, 0
	v_mov_b32_e32 v6, v3
	v_mov_b32_e32 v2, 0
	s_waitcnt lgkmcnt(0)
	s_load_dwordx2 s[2:3], s[14:15], 0x0
	v_cmp_lt_u64_e64 s0, s[10:11], 2
	s_and_b32 vcc_lo, exec_lo, s0
	s_cbranch_vccnz .LBB0_8
; %bb.1:
	s_load_dwordx2 s[0:1], s[4:5], 0x10
	v_mov_b32_e32 v1, 0
	s_add_u32 s6, s14, 8
	v_mov_b32_e32 v2, 0
	s_addc_u32 s7, s15, 0
	s_mov_b64 s[18:19], 1
	s_waitcnt lgkmcnt(0)
	s_add_u32 s16, s0, 8
	s_addc_u32 s17, s1, 0
.LBB0_2:                                ; =>This Inner Loop Header: Depth=1
	s_load_dwordx2 s[20:21], s[16:17], 0x0
                                        ; implicit-def: $vgpr7_vgpr8
	s_mov_b32 s0, exec_lo
	s_waitcnt lgkmcnt(0)
	v_or_b32_e32 v4, s21, v6
	v_cmpx_ne_u64_e32 0, v[3:4]
	s_xor_b32 s1, exec_lo, s0
	s_cbranch_execz .LBB0_4
; %bb.3:                                ;   in Loop: Header=BB0_2 Depth=1
	v_cvt_f32_u32_e32 v4, s20
	v_cvt_f32_u32_e32 v7, s21
	s_sub_u32 s0, 0, s20
	s_subb_u32 s22, 0, s21
	v_fmac_f32_e32 v4, 0x4f800000, v7
	v_rcp_f32_e32 v4, v4
	v_mul_f32_e32 v4, 0x5f7ffffc, v4
	v_mul_f32_e32 v7, 0x2f800000, v4
	v_trunc_f32_e32 v7, v7
	v_fmac_f32_e32 v4, 0xcf800000, v7
	v_cvt_u32_f32_e32 v7, v7
	v_cvt_u32_f32_e32 v4, v4
	v_mul_lo_u32 v8, s0, v7
	v_mul_hi_u32 v9, s0, v4
	v_mul_lo_u32 v10, s22, v4
	v_add_nc_u32_e32 v8, v9, v8
	v_mul_lo_u32 v9, s0, v4
	v_add_nc_u32_e32 v8, v8, v10
	v_mul_hi_u32 v10, v4, v9
	v_mul_lo_u32 v11, v4, v8
	v_mul_hi_u32 v12, v4, v8
	v_mul_hi_u32 v13, v7, v9
	v_mul_lo_u32 v9, v7, v9
	v_mul_hi_u32 v14, v7, v8
	v_mul_lo_u32 v8, v7, v8
	v_add_co_u32 v10, vcc_lo, v10, v11
	v_add_co_ci_u32_e32 v11, vcc_lo, 0, v12, vcc_lo
	v_add_co_u32 v9, vcc_lo, v10, v9
	v_add_co_ci_u32_e32 v9, vcc_lo, v11, v13, vcc_lo
	v_add_co_ci_u32_e32 v10, vcc_lo, 0, v14, vcc_lo
	v_add_co_u32 v8, vcc_lo, v9, v8
	v_add_co_ci_u32_e32 v9, vcc_lo, 0, v10, vcc_lo
	v_add_co_u32 v4, vcc_lo, v4, v8
	v_add_co_ci_u32_e32 v7, vcc_lo, v7, v9, vcc_lo
	v_mul_hi_u32 v8, s0, v4
	v_mul_lo_u32 v10, s22, v4
	v_mul_lo_u32 v9, s0, v7
	v_add_nc_u32_e32 v8, v8, v9
	v_mul_lo_u32 v9, s0, v4
	v_add_nc_u32_e32 v8, v8, v10
	v_mul_hi_u32 v10, v4, v9
	v_mul_lo_u32 v11, v4, v8
	v_mul_hi_u32 v12, v4, v8
	v_mul_hi_u32 v13, v7, v9
	v_mul_lo_u32 v9, v7, v9
	v_mul_hi_u32 v14, v7, v8
	v_mul_lo_u32 v8, v7, v8
	v_add_co_u32 v10, vcc_lo, v10, v11
	v_add_co_ci_u32_e32 v11, vcc_lo, 0, v12, vcc_lo
	v_add_co_u32 v9, vcc_lo, v10, v9
	v_add_co_ci_u32_e32 v9, vcc_lo, v11, v13, vcc_lo
	v_add_co_ci_u32_e32 v10, vcc_lo, 0, v14, vcc_lo
	v_add_co_u32 v8, vcc_lo, v9, v8
	v_add_co_ci_u32_e32 v9, vcc_lo, 0, v10, vcc_lo
	v_add_co_u32 v4, vcc_lo, v4, v8
	v_add_co_ci_u32_e32 v11, vcc_lo, v7, v9, vcc_lo
	v_mul_hi_u32 v13, v5, v4
	v_mad_u64_u32 v[9:10], null, v6, v4, 0
	v_mad_u64_u32 v[7:8], null, v5, v11, 0
	;; [unrolled: 1-line block ×3, first 2 shown]
	v_add_co_u32 v4, vcc_lo, v13, v7
	v_add_co_ci_u32_e32 v7, vcc_lo, 0, v8, vcc_lo
	v_add_co_u32 v4, vcc_lo, v4, v9
	v_add_co_ci_u32_e32 v4, vcc_lo, v7, v10, vcc_lo
	v_add_co_ci_u32_e32 v7, vcc_lo, 0, v12, vcc_lo
	v_add_co_u32 v4, vcc_lo, v4, v11
	v_add_co_ci_u32_e32 v9, vcc_lo, 0, v7, vcc_lo
	v_mul_lo_u32 v10, s21, v4
	v_mad_u64_u32 v[7:8], null, s20, v4, 0
	v_mul_lo_u32 v11, s20, v9
	v_sub_co_u32 v7, vcc_lo, v5, v7
	v_add3_u32 v8, v8, v11, v10
	v_sub_nc_u32_e32 v10, v6, v8
	v_subrev_co_ci_u32_e64 v10, s0, s21, v10, vcc_lo
	v_add_co_u32 v11, s0, v4, 2
	v_add_co_ci_u32_e64 v12, s0, 0, v9, s0
	v_sub_co_u32 v13, s0, v7, s20
	v_sub_co_ci_u32_e32 v8, vcc_lo, v6, v8, vcc_lo
	v_subrev_co_ci_u32_e64 v10, s0, 0, v10, s0
	v_cmp_le_u32_e32 vcc_lo, s20, v13
	v_cmp_eq_u32_e64 s0, s21, v8
	v_cndmask_b32_e64 v13, 0, -1, vcc_lo
	v_cmp_le_u32_e32 vcc_lo, s21, v10
	v_cndmask_b32_e64 v14, 0, -1, vcc_lo
	v_cmp_le_u32_e32 vcc_lo, s20, v7
	;; [unrolled: 2-line block ×3, first 2 shown]
	v_cndmask_b32_e64 v15, 0, -1, vcc_lo
	v_cmp_eq_u32_e32 vcc_lo, s21, v10
	v_cndmask_b32_e64 v7, v15, v7, s0
	v_cndmask_b32_e32 v10, v14, v13, vcc_lo
	v_add_co_u32 v13, vcc_lo, v4, 1
	v_add_co_ci_u32_e32 v14, vcc_lo, 0, v9, vcc_lo
	v_cmp_ne_u32_e32 vcc_lo, 0, v10
	v_cndmask_b32_e32 v8, v14, v12, vcc_lo
	v_cndmask_b32_e32 v10, v13, v11, vcc_lo
	v_cmp_ne_u32_e32 vcc_lo, 0, v7
	v_cndmask_b32_e32 v8, v9, v8, vcc_lo
	v_cndmask_b32_e32 v7, v4, v10, vcc_lo
.LBB0_4:                                ;   in Loop: Header=BB0_2 Depth=1
	s_andn2_saveexec_b32 s0, s1
	s_cbranch_execz .LBB0_6
; %bb.5:                                ;   in Loop: Header=BB0_2 Depth=1
	v_cvt_f32_u32_e32 v4, s20
	s_sub_i32 s1, 0, s20
	v_rcp_iflag_f32_e32 v4, v4
	v_mul_f32_e32 v4, 0x4f7ffffe, v4
	v_cvt_u32_f32_e32 v4, v4
	v_mul_lo_u32 v7, s1, v4
	v_mul_hi_u32 v7, v4, v7
	v_add_nc_u32_e32 v4, v4, v7
	v_mul_hi_u32 v4, v5, v4
	v_mul_lo_u32 v7, v4, s20
	v_add_nc_u32_e32 v8, 1, v4
	v_sub_nc_u32_e32 v7, v5, v7
	v_subrev_nc_u32_e32 v9, s20, v7
	v_cmp_le_u32_e32 vcc_lo, s20, v7
	v_cndmask_b32_e32 v7, v7, v9, vcc_lo
	v_cndmask_b32_e32 v4, v4, v8, vcc_lo
	v_cmp_le_u32_e32 vcc_lo, s20, v7
	v_add_nc_u32_e32 v8, 1, v4
	v_cndmask_b32_e32 v7, v4, v8, vcc_lo
	v_mov_b32_e32 v8, v3
.LBB0_6:                                ;   in Loop: Header=BB0_2 Depth=1
	s_or_b32 exec_lo, exec_lo, s0
	s_load_dwordx2 s[0:1], s[6:7], 0x0
	v_mul_lo_u32 v4, v8, s20
	v_mul_lo_u32 v11, v7, s21
	v_mad_u64_u32 v[9:10], null, v7, s20, 0
	s_add_u32 s18, s18, 1
	s_addc_u32 s19, s19, 0
	s_add_u32 s6, s6, 8
	s_addc_u32 s7, s7, 0
	;; [unrolled: 2-line block ×3, first 2 shown]
	v_add3_u32 v4, v10, v11, v4
	v_sub_co_u32 v5, vcc_lo, v5, v9
	v_sub_co_ci_u32_e32 v4, vcc_lo, v6, v4, vcc_lo
	s_waitcnt lgkmcnt(0)
	v_mul_lo_u32 v6, s1, v5
	v_mul_lo_u32 v4, s0, v4
	v_mad_u64_u32 v[1:2], null, s0, v5, v[1:2]
	v_cmp_ge_u64_e64 s0, s[18:19], s[10:11]
	s_and_b32 vcc_lo, exec_lo, s0
	v_add3_u32 v2, v6, v2, v4
	s_cbranch_vccnz .LBB0_9
; %bb.7:                                ;   in Loop: Header=BB0_2 Depth=1
	v_mov_b32_e32 v5, v7
	v_mov_b32_e32 v6, v8
	s_branch .LBB0_2
.LBB0_8:
	v_mov_b32_e32 v8, v6
	v_mov_b32_e32 v7, v5
.LBB0_9:
	s_lshl_b64 s[0:1], s[10:11], 3
	v_mul_hi_u32 v3, 0x1a98ef7, v0
	s_add_u32 s0, s14, s0
	s_addc_u32 s1, s15, s1
                                        ; implicit-def: $vgpr10_vgpr11
                                        ; implicit-def: $vgpr14_vgpr15
                                        ; implicit-def: $vgpr18_vgpr19
                                        ; implicit-def: $vgpr22_vgpr23
                                        ; implicit-def: $vgpr30_vgpr31
                                        ; implicit-def: $vgpr26_vgpr27
                                        ; implicit-def: $vgpr42_vgpr43
                                        ; implicit-def: $vgpr38_vgpr39
                                        ; implicit-def: $vgpr46_vgpr47
                                        ; implicit-def: $vgpr34_vgpr35
	s_load_dwordx2 s[0:1], s[0:1], 0x0
	s_load_dwordx2 s[4:5], s[4:5], 0x20
	v_mul_u32_u24_e32 v3, 0x9a, v3
	v_sub_nc_u32_e32 v88, v0, v3
	s_waitcnt lgkmcnt(0)
	v_mul_lo_u32 v4, s0, v8
	v_mul_lo_u32 v5, s1, v7
	v_mad_u64_u32 v[1:2], null, s0, v7, v[1:2]
	v_cmp_gt_u64_e32 vcc_lo, s[4:5], v[7:8]
	v_cmp_gt_u32_e64 s0, 0x8c, v88
                                        ; implicit-def: $vgpr6_vgpr7
	s_and_b32 s1, vcc_lo, s0
	v_add3_u32 v2, v5, v2, v4
	v_lshlrev_b64 v[90:91], 4, v[1:2]
	s_and_saveexec_b32 s4, s1
	s_cbranch_execz .LBB0_11
; %bb.10:
	v_add_nc_u32_e32 v6, 0x8c, v88
	v_mad_u64_u32 v[0:1], null, s2, v88, 0
	v_add_nc_u32_e32 v7, 0x118, v88
	v_add_nc_u32_e32 v14, 0x1a4, v88
	v_mad_u64_u32 v[2:3], null, s2, v6, 0
	v_add_co_u32 v21, s1, s12, v90
	v_mad_u64_u32 v[8:9], null, s2, v7, 0
	v_mad_u64_u32 v[10:11], null, s2, v14, 0
	;; [unrolled: 1-line block ×3, first 2 shown]
	v_add_co_ci_u32_e64 v22, s1, s13, v91, s1
	v_add_nc_u32_e32 v17, 0x230, v88
	v_add_nc_u32_e32 v18, 0x2bc, v88
	v_add_nc_u32_e32 v20, 0x460, v88
	v_add_nc_u32_e32 v23, 0x4ec, v88
	v_mad_u64_u32 v[5:6], null, s3, v6, v[3:4]
	v_mov_b32_e32 v1, v4
	v_mov_b32_e32 v4, v9
	v_mad_u64_u32 v[12:13], null, s2, v17, 0
	v_add_nc_u32_e32 v28, 0x578, v88
	v_lshlrev_b64 v[0:1], 4, v[0:1]
	v_mov_b32_e32 v3, v5
	v_mov_b32_e32 v5, v11
	;; [unrolled: 1-line block ×3, first 2 shown]
	v_lshlrev_b64 v[2:3], 4, v[2:3]
	v_add_co_u32 v0, s1, v21, v0
	v_mad_u64_u32 v[6:7], null, s3, v7, v[4:5]
	v_add_co_ci_u32_e64 v1, s1, v22, v1, s1
	v_add_co_u32 v2, s1, v21, v2
	v_add_co_ci_u32_e64 v3, s1, v22, v3, s1
	v_mov_b32_e32 v9, v6
	v_mad_u64_u32 v[14:15], null, s3, v14, v[5:6]
	s_clause 0x1
	global_load_dwordx4 v[4:7], v[0:1], off
	global_load_dwordx4 v[32:35], v[2:3], off
	v_mad_u64_u32 v[15:16], null, s2, v18, 0
	v_mad_u64_u32 v[2:3], null, s3, v17, v[11:12]
	v_lshlrev_b64 v[0:1], 4, v[8:9]
	v_mov_b32_e32 v11, v14
	v_mov_b32_e32 v3, v16
	;; [unrolled: 1-line block ×3, first 2 shown]
	v_lshlrev_b64 v[8:9], 4, v[10:11]
	v_add_co_u32 v0, s1, v21, v0
	v_add_co_ci_u32_e64 v1, s1, v22, v1, s1
	v_lshlrev_b64 v[10:11], 4, v[12:13]
	v_add_co_u32 v8, s1, v21, v8
	v_add_co_ci_u32_e64 v9, s1, v22, v9, s1
	s_clause 0x1
	global_load_dwordx4 v[44:47], v[0:1], off
	global_load_dwordx4 v[36:39], v[8:9], off
	v_add_co_u32 v0, s1, v21, v10
	v_add_co_ci_u32_e64 v1, s1, v22, v11, s1
	s_waitcnt vmcnt(3)
	v_mad_u64_u32 v[2:3], null, s3, v18, v[3:4]
	v_add_nc_u32_e32 v3, 0x348, v88
	v_add_nc_u32_e32 v18, 0x3d4, v88
	v_mad_u64_u32 v[12:13], null, s2, v3, 0
	v_mov_b32_e32 v16, v2
	v_mad_u64_u32 v[10:11], null, s2, v18, 0
	v_lshlrev_b64 v[8:9], 4, v[15:16]
	v_mov_b32_e32 v2, v13
	v_mad_u64_u32 v[14:15], null, s2, v20, 0
	v_mad_u64_u32 v[16:17], null, s2, v23, 0
	;; [unrolled: 1-line block ×3, first 2 shown]
	v_add_co_u32 v8, s1, v21, v8
	v_mov_b32_e32 v3, v15
	v_add_co_ci_u32_e64 v9, s1, v22, v9, s1
	s_clause 0x1
	global_load_dwordx4 v[40:43], v[0:1], off
	global_load_dwordx4 v[24:27], v[8:9], off
	v_mov_b32_e32 v13, v2
	v_mov_b32_e32 v2, v11
	;; [unrolled: 1-line block ×3, first 2 shown]
	v_lshlrev_b64 v[8:9], 4, v[12:13]
	v_mad_u64_u32 v[18:19], null, s3, v18, v[2:3]
	v_mad_u64_u32 v[2:3], null, s3, v20, v[3:4]
	;; [unrolled: 1-line block ×4, first 2 shown]
	v_mov_b32_e32 v11, v18
	v_mov_b32_e32 v15, v2
	v_add_co_u32 v2, s1, v21, v8
	v_mov_b32_e32 v1, v20
	v_add_co_ci_u32_e64 v3, s1, v22, v9, s1
	v_lshlrev_b64 v[8:9], 4, v[10:11]
	v_mov_b32_e32 v17, v0
	v_mad_u64_u32 v[10:11], null, s3, v28, v[1:2]
	v_lshlrev_b64 v[11:12], 4, v[14:15]
	v_add_co_u32 v0, s1, v21, v8
	v_add_co_ci_u32_e64 v1, s1, v22, v9, s1
	v_mov_b32_e32 v20, v10
	v_lshlrev_b64 v[8:9], 4, v[16:17]
	v_add_co_u32 v10, s1, v21, v11
	v_add_co_ci_u32_e64 v11, s1, v22, v12, s1
	v_lshlrev_b64 v[12:13], 4, v[19:20]
	v_add_co_u32 v8, s1, v21, v8
	v_add_co_ci_u32_e64 v9, s1, v22, v9, s1
	v_add_co_u32 v48, s1, v21, v12
	v_add_co_ci_u32_e64 v49, s1, v22, v13, s1
	s_clause 0x4
	global_load_dwordx4 v[28:31], v[2:3], off
	global_load_dwordx4 v[20:23], v[0:1], off
	;; [unrolled: 1-line block ×5, first 2 shown]
.LBB0_11:
	s_or_b32 exec_lo, exec_lo, s4
	s_waitcnt vmcnt(0)
	v_add_f64 v[0:1], v[34:35], -v[10:11]
	s_mov_b32 s14, 0xf8bb580b
	s_mov_b32 s15, 0xbfe14ced
	v_add_f64 v[62:63], v[8:9], v[32:33]
	v_add_f64 v[52:53], v[46:47], -v[14:15]
	s_mov_b32 s4, 0x8764f0ba
	s_mov_b32 s18, 0x8eee2c13
	s_mov_b32 s5, 0x3feaeb8c
	s_mov_b32 s19, 0xbfed1bb4
	v_add_f64 v[68:69], v[12:13], v[44:45]
	v_add_f64 v[48:49], v[38:39], -v[18:19]
	s_mov_b32 s6, 0xd9c712b6
	s_mov_b32 s22, 0x43842ef
	;; [unrolled: 6-line block ×3, first 2 shown]
	s_mov_b32 s11, 0xbfc2375f
	s_mov_b32 s25, 0xbfe82f19
	v_add_f64 v[74:75], v[20:21], v[40:41]
	v_mul_f64 v[56:57], v[0:1], s[14:15]
	s_mov_b32 s16, 0x7f775887
	s_mov_b32 s26, 0xfd768dbf
	;; [unrolled: 1-line block ×3, first 2 shown]
	v_mul_f64 v[64:65], v[52:53], s[18:19]
	s_mov_b32 s27, 0xbfd207e7
	v_add_f64 v[70:71], v[28:29], v[24:25]
	s_mov_b32 s20, 0x9bcd5057
	s_mov_b32 s21, 0xbfeeb42a
	v_mul_f64 v[66:67], v[48:49], s[22:23]
	v_mul_f64 v[58:59], v[50:51], s[24:25]
	v_fma_f64 v[2:3], v[62:63], s[4:5], -v[56:57]
	v_fma_f64 v[54:55], v[68:69], s[6:7], -v[64:65]
	;; [unrolled: 1-line block ×4, first 2 shown]
	v_add_f64 v[2:3], v[4:5], v[2:3]
	v_add_f64 v[2:3], v[54:55], v[2:3]
	v_add_f64 v[54:55], v[26:27], -v[30:31]
	v_add_f64 v[2:3], v[60:61], v[2:3]
	v_mul_f64 v[60:61], v[54:55], s[26:27]
	v_add_f64 v[2:3], v[76:77], v[2:3]
	v_fma_f64 v[76:77], v[70:71], s[20:21], -v[60:61]
	v_add_f64 v[2:3], v[76:77], v[2:3]
	s_and_saveexec_b32 s1, s0
	s_cbranch_execz .LBB0_13
; %bb.12:
	v_add_f64 v[76:77], v[32:33], v[4:5]
	v_mul_f64 v[82:83], v[62:63], s[20:21]
	v_mul_f64 v[84:85], v[62:63], s[16:17]
	v_mul_f64 v[86:87], v[62:63], s[10:11]
	v_mul_f64 v[92:93], v[62:63], s[6:7]
	v_mul_f64 v[62:63], v[62:63], s[4:5]
	s_mov_b32 s29, 0x3fe82f19
	s_mov_b32 s28, s24
	;; [unrolled: 1-line block ×4, first 2 shown]
	v_mul_f64 v[94:95], v[68:69], s[4:5]
	v_mul_f64 v[96:97], v[68:69], s[10:11]
	;; [unrolled: 1-line block ×5, first 2 shown]
	s_mov_b32 s31, 0x3fefac9e
	s_mov_b32 s30, s22
	;; [unrolled: 1-line block ×6, first 2 shown]
	v_mul_f64 v[102:103], v[72:73], s[16:17]
	v_add_f64 v[76:77], v[44:45], v[76:77]
	v_fma_f64 v[110:111], v[0:1], s[38:39], v[82:83]
	v_fma_f64 v[82:83], v[0:1], s[26:27], v[82:83]
	;; [unrolled: 1-line block ×8, first 2 shown]
	v_add_f64 v[56:57], v[56:57], v[62:63]
	v_mul_f64 v[104:105], v[72:73], s[4:5]
	v_mul_f64 v[106:107], v[72:73], s[6:7]
	;; [unrolled: 1-line block ×4, first 2 shown]
	v_fma_f64 v[118:119], v[52:53], s[14:15], v[94:95]
	v_fma_f64 v[94:95], v[52:53], s[36:37], v[94:95]
	;; [unrolled: 1-line block ×8, first 2 shown]
	v_add_f64 v[76:77], v[36:37], v[76:77]
	v_add_f64 v[64:65], v[64:65], v[68:69]
	v_add_f64 v[68:69], v[4:5], v[110:111]
	v_add_f64 v[82:83], v[4:5], v[82:83]
	v_add_f64 v[100:101], v[4:5], v[112:113]
	v_add_f64 v[84:85], v[4:5], v[84:85]
	v_add_f64 v[110:111], v[4:5], v[114:115]
	v_add_f64 v[112:113], v[4:5], v[116:117]
	v_add_f64 v[86:87], v[4:5], v[86:87]
	v_add_f64 v[0:1], v[4:5], v[0:1]
	v_add_f64 v[4:5], v[4:5], v[56:57]
	v_mul_f64 v[92:93], v[74:75], s[20:21]
	v_mul_f64 v[114:115], v[74:75], s[10:11]
	v_fma_f64 v[116:117], v[48:49], s[28:29], v[102:103]
	v_fma_f64 v[102:103], v[48:49], s[24:25], v[102:103]
	;; [unrolled: 1-line block ×8, first 2 shown]
	v_add_f64 v[66:67], v[66:67], v[72:73]
	v_add_f64 v[76:77], v[40:41], v[76:77]
	v_mul_f64 v[78:79], v[70:71], s[10:11]
	v_add_f64 v[68:69], v[118:119], v[68:69]
	v_add_f64 v[72:73], v[94:95], v[82:83]
	;; [unrolled: 1-line block ×9, first 2 shown]
	v_mul_f64 v[80:81], v[70:71], s[6:7]
	v_mul_f64 v[64:65], v[70:71], s[16:17]
	;; [unrolled: 1-line block ×3, first 2 shown]
	v_fma_f64 v[100:101], v[50:51], s[38:39], v[92:93]
	v_fma_f64 v[92:93], v[50:51], s[26:27], v[92:93]
	;; [unrolled: 1-line block ×3, first 2 shown]
	v_mul_f64 v[70:71], v[70:71], s[20:21]
	v_add_f64 v[62:63], v[24:25], v[76:77]
	v_mul_f64 v[76:77], v[74:75], s[6:7]
	v_add_f64 v[68:69], v[116:117], v[68:69]
	v_add_f64 v[72:73], v[102:103], v[72:73]
	;; [unrolled: 1-line block ×6, first 2 shown]
	v_fma_f64 v[66:67], v[54:55], s[30:31], v[78:79]
	v_fma_f64 v[78:79], v[54:55], s[22:23], v[78:79]
	v_fma_f64 v[86:87], v[54:55], s[18:19], v[80:81]
	v_fma_f64 v[80:81], v[54:55], s[34:35], v[80:81]
	v_fma_f64 v[102:103], v[54:55], s[14:15], v[96:97]
	v_add_f64 v[60:61], v[60:61], v[70:71]
	v_add_f64 v[56:57], v[28:29], v[62:63]
	v_mul_f64 v[62:63], v[74:75], s[4:5]
	v_mul_f64 v[74:75], v[74:75], s[16:17]
	v_fma_f64 v[98:99], v[50:51], s[18:19], v[76:77]
	v_fma_f64 v[76:77], v[50:51], s[34:35], v[76:77]
	v_add_f64 v[0:1], v[110:111], v[0:1]
	v_add_f64 v[56:57], v[20:21], v[56:57]
	v_fma_f64 v[108:109], v[50:51], s[36:37], v[62:63]
	v_fma_f64 v[62:63], v[50:51], s[14:15], v[62:63]
	;; [unrolled: 1-line block ×3, first 2 shown]
	v_add_f64 v[58:59], v[58:59], v[74:75]
	v_add_f64 v[74:75], v[126:127], v[82:83]
	;; [unrolled: 1-line block ×4, first 2 shown]
	v_fma_f64 v[94:95], v[54:55], s[28:29], v[64:65]
	v_fma_f64 v[64:65], v[54:55], s[24:25], v[64:65]
	;; [unrolled: 1-line block ×3, first 2 shown]
	v_add_f64 v[68:69], v[98:99], v[68:69]
	v_add_f64 v[70:71], v[76:77], v[72:73]
	v_add_f64 v[0:1], v[102:103], v[0:1]
	v_add_f64 v[56:57], v[16:17], v[56:57]
	v_add_f64 v[48:49], v[50:51], v[48:49]
	v_add_f64 v[50:51], v[108:109], v[52:53]
	v_add_f64 v[72:73], v[100:101], v[74:75]
	v_add_f64 v[74:75], v[92:93], v[82:83]
	v_add_f64 v[62:63], v[62:63], v[84:85]
	v_add_f64 v[4:5], v[58:59], v[4:5]
	v_add_f64 v[58:59], v[78:79], v[70:71]
	v_add_f64 v[52:53], v[12:13], v[56:57]
	v_add_f64 v[56:57], v[66:67], v[68:69]
	v_add_f64 v[48:49], v[54:55], v[48:49]
	v_add_f64 v[50:51], v[94:95], v[50:51]
	v_add_f64 v[66:67], v[86:87], v[72:73]
	v_add_f64 v[68:69], v[80:81], v[74:75]
	v_add_f64 v[62:63], v[64:65], v[62:63]
	v_add_f64 v[4:5], v[60:61], v[4:5]
	v_mad_u32_u24 v54, 0x58, v88, 0
	v_add_f64 v[52:53], v[8:9], v[52:53]
	ds_write2_b64 v54, v[48:49], v[62:63] offset0:2 offset1:3
	ds_write2_b64 v54, v[68:69], v[58:59] offset0:4 offset1:5
	;; [unrolled: 1-line block ×4, first 2 shown]
	ds_write2_b64 v54, v[52:53], v[4:5] offset1:1
	ds_write_b64 v54, v[2:3] offset:80
.LBB0_13:
	s_or_b32 exec_lo, exec_lo, s1
	v_add_f64 v[78:79], v[32:33], -v[8:9]
	v_add_f64 v[68:69], v[10:11], v[34:35]
	v_add_f64 v[76:77], v[44:45], -v[12:13]
	v_add_f64 v[44:45], v[14:15], v[46:47]
	;; [unrolled: 2-line block ×4, first 2 shown]
	v_add_f64 v[20:21], v[24:25], -v[28:29]
	v_lshl_add_u32 v100, v88, 3, 0
	s_waitcnt lgkmcnt(0)
	s_barrier
	buffer_gl0_inv
	ds_read2_b64 v[60:63], v100 offset1:154
	v_mul_f64 v[74:75], v[78:79], s[14:15]
	v_mul_f64 v[70:71], v[76:77], s[18:19]
	;; [unrolled: 1-line block ×4, first 2 shown]
	v_fma_f64 v[0:1], v[68:69], s[4:5], v[74:75]
	v_fma_f64 v[4:5], v[44:45], s[6:7], v[70:71]
	;; [unrolled: 1-line block ×4, first 2 shown]
	v_add_f64 v[0:1], v[6:7], v[0:1]
	v_add_f64 v[24:25], v[4:5], v[0:1]
	;; [unrolled: 1-line block ×3, first 2 shown]
	v_mul_f64 v[4:5], v[20:21], s[26:27]
	v_add_f64 v[8:9], v[8:9], v[24:25]
	v_add_nc_u32_e32 v25, 0x1200, v100
	v_fma_f64 v[48:49], v[0:1], s[20:21], v[4:5]
	v_add_nc_u32_e32 v24, 0x800, v100
	ds_read2_b64 v[56:59], v25 offset0:40 offset1:194
	v_add_f64 v[8:9], v[28:29], v[8:9]
	v_add_nc_u32_e32 v28, 0x1c00, v100
	v_add_nc_u32_e32 v29, 0x2400, v100
	v_add_f64 v[8:9], v[48:49], v[8:9]
	ds_read2_b64 v[52:55], v28 offset0:28 offset1:182
	ds_read2_b64 v[64:67], v24 offset0:52 offset1:206
	;; [unrolled: 1-line block ×3, first 2 shown]
	s_waitcnt lgkmcnt(0)
	s_barrier
	buffer_gl0_inv
	s_and_saveexec_b32 s28, s0
	s_cbranch_execz .LBB0_15
; %bb.14:
	v_add_f64 v[34:35], v[34:35], v[6:7]
	s_mov_b32 s14, 0x43842ef
	v_mul_f64 v[80:81], v[44:45], s[6:7]
	s_mov_b32 s7, 0xbfed1bb4
	s_mov_b32 s6, 0x8eee2c13
	;; [unrolled: 1-line block ×5, first 2 shown]
	v_mul_f64 v[92:93], v[78:79], s[14:15]
	v_mul_f64 v[94:95], v[78:79], s[18:19]
	s_mov_b32 s0, 0xd9c712b6
	s_mov_b32 s30, 0xf8bb580b
	v_mul_f64 v[82:83], v[32:33], s[10:11]
	v_mul_f64 v[84:85], v[12:13], s[16:17]
	s_mov_b32 s1, 0x3fda9628
	s_mov_b32 s10, 0x7f775887
	;; [unrolled: 1-line block ×8, first 2 shown]
	v_add_f64 v[34:35], v[46:47], v[34:35]
	v_mul_f64 v[46:47], v[68:69], s[4:5]
	s_mov_b32 s4, 0x640f44db
	s_mov_b32 s5, 0xbfc2375f
	;; [unrolled: 1-line block ×4, first 2 shown]
	v_mul_f64 v[96:97], v[76:77], s[30:31]
	v_mul_f64 v[101:102], v[76:77], s[24:25]
	v_fma_f64 v[107:108], v[68:69], s[4:5], -v[92:93]
	v_fma_f64 v[109:110], v[68:69], s[10:11], -v[94:95]
	v_fma_f64 v[94:95], v[68:69], s[10:11], v[94:95]
	v_mul_f64 v[86:87], v[0:1], s[20:21]
	s_mov_b32 s20, 0x8764f0ba
	s_mov_b32 s21, 0x3feaeb8c
	;; [unrolled: 1-line block ×4, first 2 shown]
	v_add_f64 v[70:71], v[80:81], -v[70:71]
	v_mul_f64 v[98:99], v[72:73], s[18:19]
	v_mul_f64 v[103:104], v[40:41], s[26:27]
	v_add_f64 v[36:37], v[82:83], -v[36:37]
	v_mul_f64 v[105:106], v[20:21], s[30:31]
	v_add_f64 v[16:17], v[84:85], -v[16:17]
	v_add_f64 v[34:35], v[38:39], v[34:35]
	v_mul_f64 v[38:39], v[78:79], s[6:7]
	v_mul_f64 v[78:79], v[78:79], s[26:27]
	v_add_f64 v[46:47], v[46:47], -v[74:75]
	s_mov_b32 s7, 0x3fed1bb4
	v_fma_f64 v[113:114], v[44:45], s[20:21], -v[96:97]
	v_fma_f64 v[96:97], v[44:45], s[20:21], v[96:97]
	v_fma_f64 v[115:116], v[44:45], s[16:17], -v[101:102]
	v_fma_f64 v[101:102], v[44:45], s[16:17], v[101:102]
	v_add_f64 v[94:95], v[6:7], v[94:95]
	v_add_f64 v[4:5], v[86:87], -v[4:5]
	v_fma_f64 v[82:83], v[32:33], s[10:11], -v[98:99]
	v_fma_f64 v[98:99], v[32:33], s[10:11], v[98:99]
	v_fma_f64 v[84:85], v[12:13], s[16:17], v[103:104]
	v_add_f64 v[34:35], v[42:43], v[34:35]
	v_mul_f64 v[42:43], v[76:77], s[18:19]
	v_mul_f64 v[76:77], v[76:77], s[22:23]
	v_fma_f64 v[74:75], v[68:69], s[0:1], -v[38:39]
	v_fma_f64 v[38:39], v[68:69], s[0:1], v[38:39]
	v_fma_f64 v[111:112], v[68:69], s[16:17], -v[78:79]
	v_fma_f64 v[78:79], v[68:69], s[16:17], v[78:79]
	v_fma_f64 v[68:69], v[68:69], s[4:5], v[92:93]
	v_mul_f64 v[92:93], v[72:73], s[6:7]
	v_add_f64 v[46:47], v[6:7], v[46:47]
	v_add_f64 v[26:27], v[26:27], v[34:35]
	v_mul_f64 v[34:35], v[72:73], s[24:25]
	v_fma_f64 v[80:81], v[44:45], s[10:11], -v[42:43]
	v_fma_f64 v[42:43], v[44:45], s[10:11], v[42:43]
	v_fma_f64 v[117:118], v[44:45], s[4:5], -v[76:77]
	v_fma_f64 v[44:45], v[44:45], s[4:5], v[76:77]
	v_add_f64 v[74:75], v[6:7], v[74:75]
	v_add_f64 v[38:39], v[6:7], v[38:39]
	;; [unrolled: 1-line block ×3, first 2 shown]
	v_mul_f64 v[72:73], v[72:73], s[34:35]
	v_add_f64 v[107:108], v[6:7], v[109:110]
	v_add_f64 v[109:110], v[6:7], v[111:112]
	;; [unrolled: 1-line block ×4, first 2 shown]
	v_mul_f64 v[68:69], v[40:41], s[34:35]
	v_fma_f64 v[119:120], v[32:33], s[0:1], -v[92:93]
	v_add_f64 v[46:47], v[70:71], v[46:47]
	v_fma_f64 v[92:93], v[32:33], s[0:1], v[92:93]
	v_add_f64 v[26:27], v[30:31], v[26:27]
	v_mul_f64 v[30:31], v[40:41], s[22:23]
	v_mul_f64 v[40:41], v[40:41], s[6:7]
	v_fma_f64 v[111:112], v[32:33], s[16:17], -v[34:35]
	v_fma_f64 v[34:35], v[32:33], s[16:17], v[34:35]
	v_add_f64 v[44:45], v[44:45], v[94:95]
	v_add_f64 v[70:71], v[80:81], v[74:75]
	;; [unrolled: 1-line block ×4, first 2 shown]
	v_fma_f64 v[121:122], v[32:33], s[20:21], -v[72:73]
	v_fma_f64 v[32:33], v[32:33], s[20:21], v[72:73]
	v_add_f64 v[72:73], v[117:118], v[107:108]
	v_add_f64 v[74:75], v[113:114], v[109:110]
	;; [unrolled: 1-line block ×4, first 2 shown]
	v_mul_f64 v[78:79], v[20:21], s[14:15]
	v_fma_f64 v[80:81], v[12:13], s[16:17], -v[103:104]
	v_fma_f64 v[96:97], v[12:13], s[20:21], -v[68:69]
	v_fma_f64 v[68:69], v[12:13], s[20:21], v[68:69]
	v_add_f64 v[36:37], v[36:37], v[46:47]
	v_add_f64 v[22:23], v[22:23], v[26:27]
	v_mul_f64 v[26:27], v[20:21], s[18:19]
	v_mul_f64 v[20:21], v[20:21], s[6:7]
	v_fma_f64 v[94:95], v[12:13], s[4:5], -v[30:31]
	v_fma_f64 v[30:31], v[12:13], s[4:5], v[30:31]
	v_fma_f64 v[101:102], v[12:13], s[0:1], -v[40:41]
	v_fma_f64 v[12:13], v[12:13], s[0:1], v[40:41]
	v_add_f64 v[40:41], v[111:112], v[70:71]
	v_add_f64 v[34:35], v[34:35], v[38:39]
	;; [unrolled: 1-line block ×8, first 2 shown]
	v_fma_f64 v[70:71], v[0:1], s[20:21], v[105:106]
	v_fma_f64 v[74:75], v[0:1], s[4:5], -v[78:79]
	v_fma_f64 v[76:77], v[0:1], s[4:5], v[78:79]
	v_add_f64 v[16:17], v[16:17], v[36:37]
	v_add_f64 v[18:19], v[18:19], v[22:23]
	v_fma_f64 v[22:23], v[0:1], s[20:21], -v[105:106]
	v_fma_f64 v[72:73], v[0:1], s[10:11], -v[26:27]
	v_fma_f64 v[26:27], v[0:1], s[10:11], v[26:27]
	v_fma_f64 v[78:79], v[0:1], s[0:1], -v[20:21]
	v_fma_f64 v[0:1], v[0:1], s[0:1], v[20:21]
	v_add_f64 v[20:21], v[94:95], v[40:41]
	v_add_f64 v[30:31], v[30:31], v[34:35]
	;; [unrolled: 1-line block ×19, first 2 shown]
	v_mad_u32_u24 v14, 0x50, v88, v100
	ds_write2_b64 v14, v[16:17], v[20:21] offset0:2 offset1:3
	ds_write2_b64 v14, v[22:23], v[30:31] offset0:4 offset1:5
	;; [unrolled: 1-line block ×4, first 2 shown]
	ds_write2_b64 v14, v[10:11], v[4:5] offset1:1
	ds_write_b64 v14, v[8:9] offset:80
.LBB0_15:
	s_or_b32 exec_lo, exec_lo, s28
	v_and_b32_e32 v0, 0xff, v88
	v_add_nc_u32_e32 v92, 0x9a, v88
	v_mov_b32_e32 v4, 0xba2f
	v_add_nc_u32_e32 v94, 0x134, v88
	v_add_nc_u32_e32 v96, 0x1ce, v88
	v_mul_lo_u16 v0, 0x75, v0
	v_add_nc_u32_e32 v98, 0x268, v88
	v_mov_b32_e32 v5, 4
	v_mul_u32_u24_sdwa v6, v94, v4 dst_sel:DWORD dst_unused:UNUSED_PAD src0_sel:WORD_0 src1_sel:DWORD
	v_mul_u32_u24_sdwa v7, v96, v4 dst_sel:DWORD dst_unused:UNUSED_PAD src0_sel:WORD_0 src1_sel:DWORD
	v_lshrrev_b16 v0, 8, v0
	s_waitcnt lgkmcnt(0)
	s_barrier
	v_lshrrev_b32_e32 v93, 19, v6
	v_lshrrev_b32_e32 v95, 19, v7
	v_sub_nc_u16 v1, v88, v0
	buffer_gl0_inv
	v_add_nc_u32_e32 v46, 0xd00, v100
	v_add_nc_u32_e32 v89, 0x1b00, v100
	v_mul_lo_u16 v6, v95, 11
	v_lshrrev_b16 v1, 1, v1
	v_cmp_gt_u32_e64 s0, 0x42, v88
	v_sub_nc_u16 v103, v96, v6
	v_and_b32_e32 v1, 0x7f, v1
	v_lshlrev_b32_sdwa v6, v5, v103 dst_sel:DWORD dst_unused:UNUSED_PAD src0_sel:DWORD src1_sel:WORD_0
	v_add_nc_u16 v0, v1, v0
	v_mul_u32_u24_sdwa v1, v92, v4 dst_sel:DWORD dst_unused:UNUSED_PAD src0_sel:WORD_0 src1_sel:DWORD
	v_mul_u32_u24_sdwa v4, v98, v4 dst_sel:DWORD dst_unused:UNUSED_PAD src0_sel:WORD_0 src1_sel:DWORD
	v_lshrrev_b16 v47, 3, v0
	v_lshrrev_b32_e32 v38, 19, v1
	v_lshrrev_b32_e32 v97, 19, v4
	v_mul_lo_u16 v4, v93, 11
	v_mul_lo_u16 v0, v47, 11
	;; [unrolled: 1-line block ×4, first 2 shown]
	v_sub_nc_u16 v102, v94, v4
	v_mul_u32_u24_e32 v105, 0xb0, v38
	v_sub_nc_u16 v99, v88, v0
	v_sub_nc_u16 v101, v92, v1
	;; [unrolled: 1-line block ×3, first 2 shown]
	v_lshlrev_b32_sdwa v4, v5, v102 dst_sel:DWORD dst_unused:UNUSED_PAD src0_sel:DWORD src1_sel:WORD_0
	v_lshlrev_b32_sdwa v0, v5, v99 dst_sel:DWORD dst_unused:UNUSED_PAD src0_sel:DWORD src1_sel:BYTE_0
	v_lshlrev_b32_sdwa v1, v5, v101 dst_sel:DWORD dst_unused:UNUSED_PAD src0_sel:DWORD src1_sel:WORD_0
	v_lshlrev_b32_sdwa v5, v5, v104 dst_sel:DWORD dst_unused:UNUSED_PAD src0_sel:DWORD src1_sel:WORD_0
	s_clause 0x4
	global_load_dwordx4 v[10:13], v0, s[8:9]
	global_load_dwordx4 v[18:21], v1, s[8:9]
	;; [unrolled: 1-line block ×5, first 2 shown]
	ds_read2_b64 v[4:7], v25 offset0:40 offset1:194
	ds_read2_b64 v[76:79], v28 offset0:28 offset1:182
	;; [unrolled: 1-line block ×3, first 2 shown]
	ds_read2_b64 v[84:87], v100 offset1:154
	ds_read2_b64 v[80:83], v24 offset0:52 offset1:206
	v_mov_b32_e32 v29, 3
	s_waitcnt vmcnt(0) lgkmcnt(0)
	s_barrier
	buffer_gl0_inv
	v_mul_f64 v[0:1], v[6:7], v[12:13]
	v_mul_f64 v[14:15], v[76:77], v[20:21]
	;; [unrolled: 1-line block ×5, first 2 shown]
	v_fma_f64 v[0:1], v[58:59], v[10:11], v[0:1]
	v_fma_f64 v[14:15], v[52:53], v[18:19], v[14:15]
	v_fma_f64 v[16:17], v[54:55], v[30:31], v[16:17]
	v_fma_f64 v[22:23], v[48:49], v[42:43], v[22:23]
	v_fma_f64 v[25:26], v[50:51], v[68:69], v[25:26]
	v_add_f64 v[27:28], v[60:61], -v[0:1]
	v_add_f64 v[34:35], v[62:63], -v[14:15]
	;; [unrolled: 1-line block ×5, first 2 shown]
	v_mov_b32_e32 v26, 0xb0
	v_mul_u32_u24_sdwa v26, v47, v26 dst_sel:DWORD dst_unused:UNUSED_PAD src0_sel:WORD_0 src1_sel:DWORD
	v_fma_f64 v[22:23], v[60:61], 2.0, -v[27:28]
	v_fma_f64 v[24:25], v[62:63], 2.0, -v[34:35]
	;; [unrolled: 1-line block ×5, first 2 shown]
	v_lshlrev_b32_sdwa v64, v29, v99 dst_sel:DWORD dst_unused:UNUSED_PAD src0_sel:DWORD src1_sel:BYTE_0
	v_lshlrev_b32_sdwa v61, v29, v101 dst_sel:DWORD dst_unused:UNUSED_PAD src0_sel:DWORD src1_sel:WORD_0
	v_mul_u32_u24_e32 v56, 0xb0, v93
	v_lshlrev_b32_sdwa v62, v29, v102 dst_sel:DWORD dst_unused:UNUSED_PAD src0_sel:DWORD src1_sel:WORD_0
	v_mul_u32_u24_e32 v57, 0xb0, v95
	;; [unrolled: 2-line block ×3, first 2 shown]
	v_lshlrev_b32_sdwa v29, v29, v104 dst_sel:DWORD dst_unused:UNUSED_PAD src0_sel:DWORD src1_sel:WORD_0
	v_add3_u32 v65, 0, v26, v64
	v_add3_u32 v47, 0, v105, v61
	;; [unrolled: 1-line block ×5, first 2 shown]
                                        ; implicit-def: $vgpr56_vgpr57
	ds_write2_b64 v65, v[22:23], v[27:28] offset1:11
	ds_write2_b64 v47, v[24:25], v[34:35] offset1:11
	;; [unrolled: 1-line block ×5, first 2 shown]
	s_waitcnt lgkmcnt(0)
	s_barrier
	buffer_gl0_inv
	ds_read2_b64 v[26:29], v100 offset1:220
	ds_read2_b64 v[34:37], v46 offset0:24 offset1:244
	ds_read2_b64 v[38:41], v89 offset0:16 offset1:236
	ds_read_b64 v[60:61], v100 offset:10560
                                        ; implicit-def: $vgpr24_vgpr25
	s_and_saveexec_b32 s1, s0
	s_cbranch_execz .LBB0_17
; %bb.16:
	v_add_nc_u32_e32 v0, 0x400, v100
	v_add_nc_u32_e32 v1, 0x1200, v100
	;; [unrolled: 1-line block ×3, first 2 shown]
	ds_read2_b64 v[14:17], v0 offset0:26 offset1:246
	ds_read2_b64 v[0:3], v1 offset0:18 offset1:238
	ds_read2_b64 v[22:25], v22 offset0:10 offset1:230
	ds_read_b64 v[56:57], v100 offset:11792
.LBB0_17:
	s_or_b32 exec_lo, exec_lo, s1
	v_mul_f64 v[12:13], v[58:59], v[12:13]
	v_mul_f64 v[20:21], v[52:53], v[20:21]
	v_mul_f64 v[32:33], v[54:55], v[32:33]
	v_mul_f64 v[44:45], v[48:49], v[44:45]
	v_mul_f64 v[48:49], v[50:51], v[70:71]
	s_waitcnt lgkmcnt(0)
	s_barrier
	buffer_gl0_inv
	v_fma_f64 v[6:7], v[6:7], v[10:11], -v[12:13]
	v_fma_f64 v[10:11], v[76:77], v[18:19], -v[20:21]
	;; [unrolled: 1-line block ×5, first 2 shown]
	v_add_f64 v[30:31], v[84:85], -v[6:7]
	v_add_f64 v[32:33], v[86:87], -v[10:11]
	;; [unrolled: 1-line block ×5, first 2 shown]
	v_fma_f64 v[18:19], v[84:85], 2.0, -v[30:31]
	v_fma_f64 v[20:21], v[86:87], 2.0, -v[32:33]
	;; [unrolled: 1-line block ×5, first 2 shown]
                                        ; implicit-def: $vgpr4_vgpr5
	ds_write2_b64 v65, v[18:19], v[30:31] offset1:11
	ds_write2_b64 v47, v[20:21], v[32:33] offset1:11
	;; [unrolled: 1-line block ×5, first 2 shown]
	s_waitcnt lgkmcnt(0)
	s_barrier
	buffer_gl0_inv
	ds_read2_b64 v[18:21], v100 offset1:220
	ds_read2_b64 v[46:49], v46 offset0:24 offset1:244
	ds_read2_b64 v[42:45], v89 offset0:16 offset1:236
	ds_read_b64 v[54:55], v100 offset:10560
                                        ; implicit-def: $vgpr32_vgpr33
	s_and_saveexec_b32 s1, s0
	s_cbranch_execz .LBB0_19
; %bb.18:
	v_add_nc_u32_e32 v4, 0x400, v100
	v_add_nc_u32_e32 v5, 0x1200, v100
	;; [unrolled: 1-line block ×3, first 2 shown]
	ds_read2_b64 v[10:13], v4 offset0:26 offset1:246
	ds_read2_b64 v[6:9], v5 offset0:18 offset1:238
	;; [unrolled: 1-line block ×3, first 2 shown]
	ds_read_b64 v[4:5], v100 offset:11792
.LBB0_19:
	s_or_b32 exec_lo, exec_lo, s1
	v_lshrrev_b16 v50, 1, v88
	v_mov_b32_e32 v51, 6
	s_mov_b32 s4, 0x37e14327
	s_mov_b32 s10, 0xe976ee23
	;; [unrolled: 1-line block ×3, first 2 shown]
	v_and_b32_e32 v50, 0x7f, v50
	s_mov_b32 s11, 0x3fe11646
	s_mov_b32 s6, 0x429ad128
	;; [unrolled: 1-line block ×4, first 2 shown]
	v_mul_lo_u16 v50, 0xbb, v50
	s_mov_b32 s15, 0x3fac98ee
	s_mov_b32 s16, 0xaaaaaaaa
	;; [unrolled: 1-line block ×4, first 2 shown]
	v_lshrrev_b16 v87, 11, v50
	s_mov_b32 s18, 0x5476071b
	s_mov_b32 s23, 0xbfd5d0dc
	s_mov_b32 s19, 0x3fe77f67
	s_mov_b32 s21, 0xbfe77f67
	v_mul_lo_u16 v50, v87, 22
	s_mov_b32 s25, 0x3fd5d0dc
	s_mov_b32 s20, s18
	;; [unrolled: 1-line block ×4, first 2 shown]
	v_sub_nc_u16 v89, v88, v50
	s_mov_b32 s27, 0xbfdc38aa
	v_mul_u32_u24_sdwa v50, v89, v51 dst_sel:DWORD dst_unused:UNUSED_PAD src0_sel:BYTE_0 src1_sel:DWORD
	v_lshlrev_b32_e32 v50, 4, v50
	s_clause 0x5
	global_load_dwordx4 v[62:65], v50, s[8:9] offset:176
	global_load_dwordx4 v[69:72], v50, s[8:9] offset:192
	;; [unrolled: 1-line block ×6, first 2 shown]
	v_mov_b32_e32 v50, 0xba2f
	v_mul_u32_u24_sdwa v50, v92, v50 dst_sel:DWORD dst_unused:UNUSED_PAD src0_sel:WORD_0 src1_sel:DWORD
	v_lshrrev_b32_e32 v50, 20, v50
	v_mul_lo_u16 v50, v50, 22
	v_sub_nc_u16 v68, v92, v50
	v_mul_u32_u24_sdwa v50, v68, v51 dst_sel:DWORD dst_unused:UNUSED_PAD src0_sel:WORD_0 src1_sel:DWORD
	v_lshlrev_b32_e32 v50, 4, v50
	s_clause 0x5
	global_load_dwordx4 v[105:108], v50, s[8:9] offset:176
	global_load_dwordx4 v[109:112], v50, s[8:9] offset:192
	;; [unrolled: 1-line block ×6, first 2 shown]
	s_waitcnt vmcnt(0) lgkmcnt(0)
	s_barrier
	buffer_gl0_inv
	v_mul_f64 v[50:51], v[20:21], v[64:65]
	v_mul_f64 v[52:53], v[46:47], v[71:72]
	v_mul_f64 v[58:59], v[54:55], v[75:76]
	v_mul_f64 v[66:67], v[44:45], v[79:80]
	v_mul_f64 v[64:65], v[28:29], v[64:65]
	v_mul_f64 v[71:72], v[34:35], v[71:72]
	v_mul_f64 v[85:86], v[48:49], v[83:84]
	v_mul_f64 v[83:84], v[36:37], v[83:84]
	v_mul_f64 v[129:130], v[38:39], v[103:104]
	v_mul_f64 v[79:80], v[40:41], v[79:80]
	v_mul_f64 v[103:104], v[42:43], v[103:104]
	v_mul_f64 v[75:76], v[60:61], v[75:76]
	v_fma_f64 v[28:29], v[28:29], v[62:63], v[50:51]
	v_fma_f64 v[50:51], v[34:35], v[69:70], v[52:53]
	;; [unrolled: 1-line block ×4, first 2 shown]
	v_fma_f64 v[52:53], v[20:21], v[62:63], -v[64:65]
	v_fma_f64 v[46:47], v[46:47], v[69:70], -v[71:72]
	v_fma_f64 v[36:37], v[36:37], v[81:82], v[85:86]
	v_fma_f64 v[20:21], v[48:49], v[81:82], -v[83:84]
	v_fma_f64 v[42:43], v[42:43], v[101:102], -v[129:130]
	;; [unrolled: 1-line block ×3, first 2 shown]
	v_fma_f64 v[38:39], v[38:39], v[101:102], v[103:104]
	v_fma_f64 v[48:49], v[54:55], v[73:74], -v[75:76]
	v_mul_f64 v[81:82], v[8:9], v[115:116]
	v_mul_f64 v[83:84], v[2:3], v[115:116]
	;; [unrolled: 1-line block ×5, first 2 shown]
	v_add_f64 v[54:55], v[28:29], v[34:35]
	v_add_f64 v[58:59], v[50:51], v[40:41]
	v_add_f64 v[62:63], v[42:43], -v[20:21]
	v_add_f64 v[60:61], v[46:47], -v[44:45]
	v_add_f64 v[66:67], v[36:37], v[38:39]
	v_add_f64 v[64:65], v[52:53], -v[48:49]
	v_fma_f64 v[30:31], v[30:31], v[117:118], -v[101:102]
	v_add_f64 v[69:70], v[58:59], v[54:55]
	v_add_f64 v[71:72], v[62:63], -v[60:61]
	v_add_f64 v[75:76], v[54:55], -v[66:67]
	;; [unrolled: 1-line block ×3, first 2 shown]
	v_add_f64 v[60:61], v[62:63], v[60:61]
	v_add_f64 v[62:63], v[64:65], -v[62:63]
	v_add_f64 v[69:70], v[66:67], v[69:70]
	v_add_f64 v[66:67], v[66:67], -v[58:59]
	v_mul_f64 v[71:72], v[71:72], s[10:11]
	v_mul_f64 v[75:76], v[75:76], s[4:5]
	;; [unrolled: 1-line block ×3, first 2 shown]
	v_add_f64 v[79:80], v[26:27], v[69:70]
	v_add_f64 v[26:27], v[58:59], -v[54:55]
	v_mul_f64 v[54:55], v[66:67], s[14:15]
	v_add_f64 v[58:59], v[60:61], v[64:65]
	v_fma_f64 v[60:61], v[62:63], s[22:23], v[71:72]
	v_fma_f64 v[66:67], v[66:67], s[14:15], v[75:76]
	v_fma_f64 v[64:65], v[73:74], s[6:7], -v[71:72]
	v_fma_f64 v[62:63], v[62:63], s[24:25], -v[77:78]
	v_mul_f64 v[73:74], v[16:17], v[107:108]
	v_mul_f64 v[77:78], v[0:1], v[111:112]
	v_fma_f64 v[69:70], v[69:70], s[16:17], v[79:80]
	v_fma_f64 v[71:72], v[26:27], s[20:21], -v[75:76]
	v_fma_f64 v[26:27], v[26:27], s[18:19], -v[54:55]
	v_mul_f64 v[54:55], v[12:13], v[107:108]
	v_mul_f64 v[75:76], v[6:7], v[111:112]
	;; [unrolled: 1-line block ×4, first 2 shown]
	v_fma_f64 v[115:116], v[58:59], s[26:27], v[60:61]
	v_mul_f64 v[127:128], v[56:57], v[127:128]
	v_fma_f64 v[119:120], v[58:59], s[26:27], v[64:65]
	v_fma_f64 v[123:124], v[58:59], s[26:27], v[62:63]
	v_fma_f64 v[60:61], v[12:13], v[105:106], -v[73:74]
	v_fma_f64 v[62:63], v[6:7], v[109:110], -v[77:78]
	v_fma_f64 v[58:59], v[2:3], v[113:114], v[81:82]
	v_fma_f64 v[64:65], v[8:9], v[113:114], -v[83:84]
	v_fma_f64 v[8:9], v[22:23], v[117:118], v[85:86]
	v_fma_f64 v[24:25], v[24:25], v[121:122], v[103:104]
	v_add_f64 v[129:130], v[66:67], v[69:70]
	v_add_f64 v[71:72], v[71:72], v[69:70]
	;; [unrolled: 1-line block ×3, first 2 shown]
	v_fma_f64 v[26:27], v[16:17], v[105:106], v[54:55]
	v_fma_f64 v[54:55], v[0:1], v[109:110], v[75:76]
	v_fma_f64 v[66:67], v[32:33], v[121:122], -v[107:108]
	v_fma_f64 v[32:33], v[56:57], v[125:126], v[111:112]
	v_mov_b32_e32 v0, 0x4d0
	v_fma_f64 v[56:57], v[4:5], v[125:126], -v[127:128]
	v_mov_b32_e32 v1, 3
	v_mul_u32_u24_sdwa v4, v87, v0 dst_sel:DWORD dst_unused:UNUSED_PAD src0_sel:WORD_0 src1_sel:DWORD
	v_lshlrev_b32_sdwa v5, v1, v89 dst_sel:DWORD dst_unused:UNUSED_PAD src0_sel:DWORD src1_sel:BYTE_0
	v_add_f64 v[2:3], v[115:116], v[129:130]
	v_add_f64 v[6:7], v[123:124], v[71:72]
	v_add_f64 v[12:13], v[69:70], -v[119:120]
	v_add_f64 v[16:17], v[119:120], v[69:70]
	v_add_f64 v[22:23], v[71:72], -v[123:124]
	v_add_f64 v[71:72], v[129:130], -v[115:116]
	v_add3_u32 v70, 0, v4, v5
	v_lshrrev_b16 v69, 1, v92
	ds_write2_b64 v70, v[79:80], v[2:3] offset1:22
	ds_write2_b64 v70, v[6:7], v[12:13] offset0:44 offset1:66
	ds_write2_b64 v70, v[16:17], v[22:23] offset0:88 offset1:110
	ds_write_b64 v70, v[71:72] offset:1056
	s_and_saveexec_b32 s1, s0
	s_cbranch_execz .LBB0_21
; %bb.20:
	v_add_f64 v[2:3], v[54:55], v[24:25]
	v_add_f64 v[4:5], v[26:27], v[32:33]
	v_add_f64 v[6:7], v[30:31], -v[64:65]
	v_add_f64 v[12:13], v[62:63], -v[66:67]
	v_add_f64 v[16:17], v[58:59], v[8:9]
	v_add_f64 v[22:23], v[60:61], -v[56:57]
	v_lshlrev_b32_sdwa v1, v1, v68 dst_sel:DWORD dst_unused:UNUSED_PAD src0_sel:DWORD src1_sel:WORD_0
	v_add_f64 v[71:72], v[2:3], v[4:5]
	v_add_f64 v[73:74], v[6:7], -v[12:13]
	v_add_f64 v[75:76], v[4:5], -v[16:17]
	;; [unrolled: 1-line block ×3, first 2 shown]
	v_add_f64 v[12:13], v[6:7], v[12:13]
	v_add_f64 v[6:7], v[22:23], -v[6:7]
	v_add_f64 v[71:72], v[16:17], v[71:72]
	v_add_f64 v[16:17], v[16:17], -v[2:3]
	v_add_f64 v[2:3], v[2:3], -v[4:5]
	v_mul_f64 v[4:5], v[73:74], s[10:11]
	v_mul_f64 v[73:74], v[75:76], s[4:5]
	;; [unrolled: 1-line block ×3, first 2 shown]
	v_add_f64 v[12:13], v[12:13], v[22:23]
	v_add_f64 v[14:15], v[14:15], v[71:72]
	v_mul_f64 v[79:80], v[16:17], s[14:15]
	v_fma_f64 v[22:23], v[6:7], s[22:23], v[4:5]
	v_fma_f64 v[16:17], v[16:17], s[14:15], v[73:74]
	v_fma_f64 v[81:82], v[2:3], s[20:21], -v[73:74]
	v_fma_f64 v[6:7], v[6:7], s[24:25], -v[75:76]
	v_fma_f64 v[4:5], v[77:78], s[6:7], -v[4:5]
	v_fma_f64 v[71:72], v[71:72], s[16:17], v[14:15]
	v_fma_f64 v[2:3], v[2:3], s[18:19], -v[79:80]
	v_fma_f64 v[22:23], v[12:13], s[26:27], v[22:23]
	v_fma_f64 v[6:7], v[12:13], s[26:27], v[6:7]
	;; [unrolled: 1-line block ×3, first 2 shown]
	v_add_f64 v[16:17], v[16:17], v[71:72]
	v_add_f64 v[12:13], v[81:82], v[71:72]
	;; [unrolled: 1-line block ×3, first 2 shown]
	v_and_b32_e32 v71, 0x7f, v69
	v_mul_lo_u16 v77, 0xbb, v71
	v_add_f64 v[75:76], v[22:23], v[16:17]
	v_add_f64 v[71:72], v[12:13], -v[6:7]
	v_add_f64 v[73:74], v[2:3], -v[4:5]
	v_add_f64 v[6:7], v[6:7], v[12:13]
	v_add_f64 v[2:3], v[4:5], v[2:3]
	v_add_f64 v[4:5], v[16:17], -v[22:23]
	v_lshrrev_b16 v12, 11, v77
	v_mul_u32_u24_sdwa v0, v12, v0 dst_sel:DWORD dst_unused:UNUSED_PAD src0_sel:WORD_0 src1_sel:DWORD
	v_add3_u32 v0, 0, v0, v1
	ds_write2_b64 v0, v[14:15], v[75:76] offset1:22
	ds_write2_b64 v0, v[6:7], v[73:74] offset0:44 offset1:66
	ds_write2_b64 v0, v[2:3], v[71:72] offset0:88 offset1:110
	ds_write_b64 v0, v[4:5] offset:1056
.LBB0_21:
	s_or_b32 exec_lo, exec_lo, s1
	v_add_f64 v[0:1], v[52:53], v[48:49]
	v_add_f64 v[2:3], v[46:47], v[44:45]
	v_add_f64 v[4:5], v[50:51], -v[40:41]
	v_add_f64 v[6:7], v[20:21], v[42:43]
	v_add_f64 v[12:13], v[38:39], -v[36:37]
	v_add_f64 v[14:15], v[28:29], -v[34:35]
	s_waitcnt lgkmcnt(0)
	s_barrier
	buffer_gl0_inv
	v_add_f64 v[16:17], v[2:3], v[0:1]
	v_add_f64 v[20:21], v[0:1], -v[6:7]
	v_add_f64 v[22:23], v[12:13], -v[4:5]
	;; [unrolled: 1-line block ×3, first 2 shown]
	v_add_f64 v[4:5], v[12:13], v[4:5]
	v_add_f64 v[12:13], v[14:15], -v[12:13]
	v_add_f64 v[0:1], v[2:3], -v[0:1]
	v_add_f64 v[16:17], v[6:7], v[16:17]
	v_add_f64 v[6:7], v[6:7], -v[2:3]
	v_mul_f64 v[20:21], v[20:21], s[4:5]
	v_mul_f64 v[22:23], v[22:23], s[10:11]
	v_mul_f64 v[34:35], v[28:29], s[6:7]
	v_add_f64 v[4:5], v[4:5], v[14:15]
	v_add_f64 v[36:37], v[18:19], v[16:17]
	v_mul_f64 v[2:3], v[6:7], s[14:15]
	v_fma_f64 v[6:7], v[6:7], s[14:15], v[20:21]
	v_fma_f64 v[14:15], v[12:13], s[22:23], v[22:23]
	v_fma_f64 v[18:19], v[28:29], s[6:7], -v[22:23]
	v_fma_f64 v[12:13], v[12:13], s[24:25], -v[34:35]
	v_fma_f64 v[20:21], v[0:1], s[20:21], -v[20:21]
	v_add_nc_u32_e32 v28, 0x800, v100
	v_add_nc_u32_e32 v29, 0x1200, v100
	;; [unrolled: 1-line block ×4, first 2 shown]
	v_fma_f64 v[16:17], v[16:17], s[16:17], v[36:37]
	v_fma_f64 v[0:1], v[0:1], s[18:19], -v[2:3]
	v_fma_f64 v[14:15], v[4:5], s[26:27], v[14:15]
	v_fma_f64 v[18:19], v[4:5], s[26:27], v[18:19]
	;; [unrolled: 1-line block ×3, first 2 shown]
	v_add_f64 v[22:23], v[6:7], v[16:17]
	v_add_f64 v[20:21], v[20:21], v[16:17]
	;; [unrolled: 1-line block ×3, first 2 shown]
	ds_read2_b64 v[0:3], v100 offset1:154
	ds_read2_b64 v[4:7], v28 offset0:52 offset1:206
	v_add_f64 v[38:39], v[22:23], -v[14:15]
	v_add_f64 v[40:41], v[20:21], -v[12:13]
	v_add_f64 v[42:43], v[18:19], v[16:17]
	v_add_f64 v[44:45], v[16:17], -v[18:19]
	v_add_f64 v[46:47], v[12:13], v[20:21]
	v_add_f64 v[48:49], v[14:15], v[22:23]
	ds_read2_b64 v[12:15], v29 offset0:40 offset1:194
	ds_read2_b64 v[16:19], v34 offset0:28 offset1:182
	;; [unrolled: 1-line block ×3, first 2 shown]
	s_waitcnt lgkmcnt(0)
	s_barrier
	buffer_gl0_inv
	ds_write2_b64 v70, v[36:37], v[38:39] offset1:22
	ds_write2_b64 v70, v[40:41], v[42:43] offset0:44 offset1:66
	ds_write2_b64 v70, v[44:45], v[46:47] offset0:88 offset1:110
	ds_write_b64 v70, v[48:49] offset:1056
	s_and_saveexec_b32 s1, s0
	s_cbranch_execz .LBB0_23
; %bb.22:
	v_add_f64 v[36:37], v[60:61], v[56:57]
	v_add_f64 v[38:39], v[62:63], v[66:67]
	;; [unrolled: 1-line block ×3, first 2 shown]
	v_add_f64 v[24:25], v[54:55], -v[24:25]
	v_add_f64 v[8:9], v[8:9], -v[58:59]
	;; [unrolled: 1-line block ×3, first 2 shown]
	s_mov_b32 s6, 0x36b3c0b5
	s_mov_b32 s7, 0x3fac98ee
	s_mov_b32 s17, 0xbfd5d0dc
	s_mov_b32 s16, 0xb247c609
	s_mov_b32 s15, 0x3fe77f67
	s_mov_b32 s14, 0x5476071b
	v_add_f64 v[32:33], v[38:39], v[36:37]
	v_add_f64 v[40:41], v[36:37], -v[30:31]
	v_add_f64 v[42:43], v[30:31], -v[38:39]
	;; [unrolled: 1-line block ×4, first 2 shown]
	v_add_f64 v[24:25], v[8:9], v[24:25]
	v_add_f64 v[8:9], v[26:27], -v[8:9]
	v_add_f64 v[30:31], v[30:31], v[32:33]
	v_add_f64 v[32:33], v[38:39], -v[36:37]
	v_mul_f64 v[36:37], v[40:41], s[4:5]
	s_mov_b32 s4, 0x429ad128
	v_mul_f64 v[40:41], v[44:45], s[10:11]
	s_mov_b32 s5, 0xbfebfeb5
	v_mul_f64 v[38:39], v[42:43], s[6:7]
	v_mul_f64 v[44:45], v[46:47], s[4:5]
	s_mov_b32 s10, 0xaaaaaaaa
	s_mov_b32 s11, 0xbff2aaaa
	v_add_f64 v[24:25], v[24:25], v[26:27]
	v_add_f64 v[10:11], v[10:11], v[30:31]
	v_fma_f64 v[26:27], v[42:43], s[6:7], v[36:37]
	v_fma_f64 v[42:43], v[8:9], s[16:17], v[40:41]
	s_mov_b32 s17, 0x3fd5d0dc
	v_fma_f64 v[38:39], v[32:33], s[14:15], -v[38:39]
	s_mov_b32 s15, 0xbfe77f67
	v_fma_f64 v[40:41], v[46:47], s[4:5], -v[40:41]
	v_fma_f64 v[8:9], v[8:9], s[16:17], -v[44:45]
	;; [unrolled: 1-line block ×3, first 2 shown]
	s_mov_b32 s4, 0x37c3f68c
	s_mov_b32 s5, 0xbfdc38aa
	v_fma_f64 v[30:31], v[30:31], s[10:11], v[10:11]
	v_fma_f64 v[36:37], v[24:25], s[4:5], v[42:43]
	;; [unrolled: 1-line block ×4, first 2 shown]
	v_add_f64 v[24:25], v[26:27], v[30:31]
	v_add_f64 v[26:27], v[32:33], v[30:31]
	;; [unrolled: 1-line block ×3, first 2 shown]
	v_and_b32_e32 v32, 0x7f, v69
	v_mul_lo_u16 v44, 0xbb, v32
	v_add_f64 v[32:33], v[24:25], -v[36:37]
	v_add_f64 v[38:39], v[26:27], -v[8:9]
	v_add_f64 v[42:43], v[40:41], v[30:31]
	v_add_f64 v[30:31], v[30:31], -v[40:41]
	v_add_f64 v[8:9], v[8:9], v[26:27]
	v_add_f64 v[24:25], v[36:37], v[24:25]
	v_mov_b32_e32 v26, 0x4d0
	v_mov_b32_e32 v27, 3
	v_lshrrev_b16 v36, 11, v44
	v_lshlrev_b32_sdwa v27, v27, v68 dst_sel:DWORD dst_unused:UNUSED_PAD src0_sel:DWORD src1_sel:WORD_0
	v_mul_u32_u24_sdwa v26, v36, v26 dst_sel:DWORD dst_unused:UNUSED_PAD src0_sel:WORD_0 src1_sel:DWORD
	v_add3_u32 v26, 0, v26, v27
	ds_write2_b64 v26, v[10:11], v[32:33] offset1:22
	ds_write2_b64 v26, v[38:39], v[42:43] offset0:44 offset1:66
	ds_write2_b64 v26, v[30:31], v[8:9] offset0:88 offset1:110
	ds_write_b64 v26, v[24:25] offset:1056
.LBB0_23:
	s_or_b32 exec_lo, exec_lo, s1
	v_lshlrev_b32_e32 v24, 2, v88
	v_mov_b32_e32 v25, 0
	s_waitcnt lgkmcnt(0)
	s_barrier
	buffer_gl0_inv
	s_mov_b32 s6, 0x134454ff
	v_lshlrev_b64 v[8:9], 4, v[24:25]
	s_mov_b32 s7, 0xbfee6f0e
	s_mov_b32 s15, 0x3fee6f0e
	;; [unrolled: 1-line block ×5, first 2 shown]
	v_add_co_u32 v10, s0, s8, v8
	v_add_co_ci_u32_e64 v11, s0, s9, v9, s0
	s_mov_b32 s11, 0x3fe2cf23
	v_add_co_u32 v8, s0, 0x800, v10
	v_add_co_ci_u32_e64 v9, s0, 0, v11, s0
	v_add_co_u32 v26, s0, 0x8f0, v10
	v_add_co_ci_u32_e64 v27, s0, 0, v11, s0
	s_clause 0x3
	global_load_dwordx4 v[8:11], v[8:9], off offset:240
	global_load_dwordx4 v[30:33], v[26:27], off offset:16
	global_load_dwordx4 v[36:39], v[26:27], off offset:32
	global_load_dwordx4 v[40:43], v[26:27], off offset:48
	ds_read2_b64 v[44:47], v28 offset0:52 offset1:206
	ds_read2_b64 v[48:51], v29 offset0:40 offset1:194
	;; [unrolled: 1-line block ×4, first 2 shown]
	ds_read2_b64 v[60:63], v100 offset1:154
	s_mov_b32 s10, s4
	s_mov_b32 s0, 0x372fe950
	;; [unrolled: 1-line block ×3, first 2 shown]
	s_waitcnt vmcnt(0) lgkmcnt(0)
	s_barrier
	buffer_gl0_inv
	v_mul_f64 v[26:27], v[44:45], v[10:11]
	v_mul_f64 v[66:67], v[48:49], v[32:33]
	;; [unrolled: 1-line block ×16, first 2 shown]
	v_fma_f64 v[4:5], v[4:5], v[8:9], v[26:27]
	v_fma_f64 v[12:13], v[12:13], v[30:31], v[66:67]
	;; [unrolled: 1-line block ×8, first 2 shown]
	v_fma_f64 v[26:27], v[44:45], v[8:9], -v[64:65]
	v_fma_f64 v[44:45], v[48:49], v[30:31], -v[68:69]
	;; [unrolled: 1-line block ×8, first 2 shown]
	v_add_f64 v[36:37], v[0:1], v[4:5]
	v_add_f64 v[46:47], v[4:5], -v[12:13]
	v_add_f64 v[38:39], v[12:13], v[16:17]
	v_add_f64 v[54:55], v[4:5], v[20:21]
	v_add_f64 v[50:51], v[20:21], -v[16:17]
	v_add_f64 v[56:57], v[12:13], -v[4:5]
	v_add_f64 v[66:67], v[14:15], v[18:19]
	v_add_f64 v[70:71], v[6:7], v[22:23]
	v_add_f64 v[58:59], v[16:17], -v[20:21]
	v_add_f64 v[64:65], v[60:61], v[26:27]
	v_add_f64 v[68:69], v[44:45], v[48:49]
	;; [unrolled: 3-line block ×3, first 2 shown]
	v_add_f64 v[103:104], v[10:11], v[30:31]
	v_add_f64 v[107:108], v[8:9], v[32:33]
	v_add_f64 v[42:43], v[44:45], -v[48:49]
	v_add_f64 v[74:75], v[26:27], -v[44:45]
	;; [unrolled: 1-line block ×8, first 2 shown]
	v_fma_f64 v[38:39], v[38:39], -0.5, v[0:1]
	v_fma_f64 v[0:1], v[54:55], -0.5, v[0:1]
	v_add_f64 v[101:102], v[6:7], -v[14:15]
	v_add_f64 v[109:110], v[14:15], -v[6:7]
	v_fma_f64 v[66:67], v[66:67], -0.5, v[2:3]
	v_fma_f64 v[2:3], v[70:71], -0.5, v[2:3]
	v_add_f64 v[54:55], v[62:63], v[8:9]
	v_add_f64 v[6:7], v[6:7], -v[22:23]
	v_add_f64 v[70:71], v[14:15], -v[18:19]
	v_add_f64 v[12:13], v[36:37], v[12:13]
	v_fma_f64 v[36:37], v[68:69], -0.5, v[60:61]
	v_add_f64 v[46:47], v[46:47], v[50:51]
	v_fma_f64 v[50:51], v[78:79], -0.5, v[60:61]
	v_add_f64 v[56:57], v[56:57], v[58:59]
	v_add_f64 v[14:15], v[82:83], v[14:15]
	v_fma_f64 v[58:59], v[103:104], -0.5, v[62:63]
	v_add_f64 v[44:45], v[64:65], v[44:45]
	v_fma_f64 v[60:61], v[107:108], -0.5, v[62:63]
	v_add_f64 v[80:81], v[48:49], -v[52:53]
	v_add_f64 v[105:106], v[22:23], -v[18:19]
	;; [unrolled: 1-line block ×3, first 2 shown]
	v_add_f64 v[62:63], v[74:75], v[76:77]
	v_fma_f64 v[64:65], v[40:41], s[6:7], v[38:39]
	v_fma_f64 v[38:39], v[40:41], s[14:15], v[38:39]
	v_fma_f64 v[68:69], v[42:43], s[14:15], v[0:1]
	v_fma_f64 v[0:1], v[42:43], s[6:7], v[0:1]
	v_fma_f64 v[74:75], v[84:85], s[6:7], v[66:67]
	v_fma_f64 v[76:77], v[86:87], s[14:15], v[2:3]
	v_fma_f64 v[66:67], v[84:85], s[14:15], v[66:67]
	v_fma_f64 v[2:3], v[86:87], s[6:7], v[2:3]
	v_add_f64 v[113:114], v[8:9], -v[10:11]
	v_add_f64 v[115:116], v[32:33], -v[30:31]
	;; [unrolled: 1-line block ×4, first 2 shown]
	v_add_f64 v[10:11], v[54:55], v[10:11]
	v_add_f64 v[12:13], v[12:13], v[16:17]
	v_fma_f64 v[16:17], v[4:5], s[14:15], v[36:37]
	v_fma_f64 v[36:37], v[4:5], s[6:7], v[36:37]
	v_fma_f64 v[54:55], v[72:73], s[6:7], v[50:51]
	v_fma_f64 v[50:51], v[72:73], s[14:15], v[50:51]
	v_add_f64 v[14:15], v[14:15], v[18:19]
	v_fma_f64 v[18:19], v[6:7], s[14:15], v[58:59]
	v_fma_f64 v[82:83], v[70:71], s[6:7], v[60:61]
	;; [unrolled: 1-line block ×7, first 2 shown]
	v_add_f64 v[26:27], v[26:27], v[80:81]
	v_add_f64 v[78:79], v[101:102], v[105:106]
	;; [unrolled: 1-line block ×3, first 2 shown]
	v_fma_f64 v[40:41], v[86:87], s[4:5], v[74:75]
	v_fma_f64 v[68:69], v[84:85], s[4:5], v[76:77]
	;; [unrolled: 1-line block ×5, first 2 shown]
	v_add_f64 v[74:75], v[113:114], v[115:116]
	v_add_f64 v[8:9], v[8:9], v[117:118]
	;; [unrolled: 1-line block ×5, first 2 shown]
	v_fma_f64 v[16:17], v[72:73], s[10:11], v[16:17]
	v_fma_f64 v[20:21], v[72:73], s[4:5], v[36:37]
	;; [unrolled: 1-line block ×10, first 2 shown]
	v_add_f64 v[14:15], v[14:15], v[22:23]
	v_fma_f64 v[38:39], v[46:47], s[0:1], v[38:39]
	v_fma_f64 v[40:41], v[78:79], s[0:1], v[40:41]
	;; [unrolled: 1-line block ×6, first 2 shown]
	ds_write2_b64 v100, v[12:13], v[48:49] offset1:154
	ds_write2_b64 v28, v[42:43], v[0:1] offset0:52 offset1:206
	ds_write2_b64 v29, v[38:39], v[14:15] offset0:40 offset1:194
	;; [unrolled: 1-line block ×4, first 2 shown]
	v_add_f64 v[44:45], v[44:45], v[52:53]
	v_add_f64 v[32:33], v[10:11], v[32:33]
	v_fma_f64 v[52:53], v[62:63], s[0:1], v[16:17]
	v_fma_f64 v[30:31], v[26:27], s[0:1], v[30:31]
	;; [unrolled: 1-line block ×6, first 2 shown]
	s_waitcnt lgkmcnt(0)
	s_barrier
	buffer_gl0_inv
	ds_read2_b64 v[0:3], v100 offset1:154
	ds_read2_b64 v[8:11], v29 offset0:40 offset1:194
	ds_read2_b64 v[12:15], v34 offset0:28 offset1:182
	;; [unrolled: 1-line block ×4, first 2 shown]
	v_fma_f64 v[20:21], v[62:63], s[0:1], v[20:21]
	v_fma_f64 v[22:23], v[74:75], s[0:1], v[22:23]
	s_waitcnt lgkmcnt(0)
	s_barrier
	buffer_gl0_inv
	ds_write2_b64 v100, v[44:45], v[52:53] offset1:154
	ds_write2_b64 v28, v[30:31], v[26:27] offset0:52 offset1:206
	ds_write2_b64 v29, v[20:21], v[32:33] offset0:40 offset1:194
	;; [unrolled: 1-line block ×4, first 2 shown]
	s_waitcnt lgkmcnt(0)
	s_barrier
	buffer_gl0_inv
	s_and_saveexec_b32 s0, vcc_lo
	s_cbranch_execz .LBB0_25
; %bb.24:
	v_mov_b32_e32 v99, v25
	v_mov_b32_e32 v97, v25
	;; [unrolled: 1-line block ×5, first 2 shown]
	v_lshlrev_b64 v[20:21], 4, v[98:99]
	v_lshlrev_b64 v[22:23], 4, v[96:97]
	;; [unrolled: 1-line block ×5, first 2 shown]
	v_add_nc_u32_e32 v71, 0x302, v88
	v_add_co_u32 v20, vcc_lo, s8, v20
	v_add_co_ci_u32_e32 v21, vcc_lo, s9, v21, vcc_lo
	v_add_co_u32 v22, vcc_lo, s8, v22
	v_add_co_ci_u32_e32 v23, vcc_lo, s9, v23, vcc_lo
	;; [unrolled: 2-line block ×4, first 2 shown]
	s_clause 0x1
	global_load_dwordx4 v[20:23], v[20:21], off offset:1904
	global_load_dwordx4 v[26:29], v[26:27], off offset:1904
	v_add_co_u32 v30, vcc_lo, s8, v30
	v_add_co_ci_u32_e32 v31, vcc_lo, s9, v31, vcc_lo
	v_add_nc_u32_e32 v72, 0x39c, v88
	v_add_co_u32 v30, vcc_lo, 0x2800, v30
	v_add_co_ci_u32_e32 v31, vcc_lo, 0, v31, vcc_lo
	v_add_co_u32 v24, vcc_lo, s8, v24
	v_add_co_ci_u32_e32 v25, vcc_lo, s9, v25, vcc_lo
	;; [unrolled: 2-line block ×5, first 2 shown]
	s_clause 0x2
	global_load_dwordx4 v[30:33], v[30:31], off offset:1904
	global_load_dwordx4 v[34:37], v[24:25], off offset:1904
	;; [unrolled: 1-line block ×3, first 2 shown]
	v_mul_hi_u32 v68, 0x551c979b, v94
	v_mul_hi_u32 v69, 0x551c979b, v96
	;; [unrolled: 1-line block ×3, first 2 shown]
	v_mad_u64_u32 v[24:25], null, s2, v88, 0
	v_mad_u64_u32 v[64:65], null, s2, v71, 0
	;; [unrolled: 1-line block ×4, first 2 shown]
	v_lshrrev_b32_e32 v73, 8, v68
	v_lshrrev_b32_e32 v74, 8, v69
	;; [unrolled: 1-line block ×3, first 2 shown]
	v_add_nc_u32_e32 v46, 0x1200, v100
	v_add_nc_u32_e32 v50, 0x2400, v100
	v_mad_u32_u24 v82, 0x302, v73, v94
	v_mad_u32_u24 v84, 0x302, v74, v96
	v_add_nc_u32_e32 v54, 0x800, v100
	v_mad_u32_u24 v85, 0x302, v75, v98
	v_add_nc_u32_e32 v58, 0x1c00, v100
	ds_read2_b64 v[42:45], v100 offset1:154
	ds_read2_b64 v[46:49], v46 offset0:40 offset1:194
	ds_read2_b64 v[50:53], v50 offset0:80 offset1:234
	;; [unrolled: 1-line block ×4, first 2 shown]
	v_mad_u64_u32 v[74:75], null, s2, v84, 0
	v_mad_u64_u32 v[76:77], null, s2, v85, 0
	v_add_co_u32 v99, vcc_lo, s12, v90
	v_add_co_ci_u32_e32 v100, vcc_lo, s13, v91, vcc_lo
	v_add_nc_u32_e32 v94, 0x302, v82
	v_add_nc_u32_e32 v96, 0x302, v84
	;; [unrolled: 1-line block ×3, first 2 shown]
	v_mad_u64_u32 v[78:79], null, s2, v96, 0
	v_mad_u64_u32 v[80:81], null, s2, v97, 0
	s_waitcnt vmcnt(3)
	v_mad_u64_u32 v[68:69], null, s3, v88, v[25:26]
	v_mov_b32_e32 v25, v65
	v_mad_u64_u32 v[69:70], null, s3, v92, v[63:64]
	v_mov_b32_e32 v63, v67
	v_mul_f64 v[86:87], v[16:17], v[28:29]
	v_mad_u64_u32 v[70:71], null, s3, v71, v[25:26]
	v_mov_b32_e32 v25, v68
	v_mad_u64_u32 v[71:72], null, s3, v72, v[63:64]
	v_mad_u64_u32 v[72:73], null, s2, v82, 0
	v_lshlrev_b64 v[24:25], 4, v[24:25]
	v_mov_b32_e32 v65, v70
	s_waitcnt lgkmcnt(2)
	v_mul_f64 v[28:29], v[50:51], v[28:29]
	v_mov_b32_e32 v63, v69
	v_mov_b32_e32 v67, v71
	v_mov_b32_e32 v71, v75
	v_mov_b32_e32 v70, v73
	v_mov_b32_e32 v73, v77
	v_mad_u64_u32 v[68:69], null, s2, v94, 0
	v_lshlrev_b64 v[62:63], 4, v[62:63]
	v_mad_u64_u32 v[82:83], null, s3, v82, v[70:71]
	v_mad_u64_u32 v[70:71], null, s3, v84, v[71:72]
	;; [unrolled: 1-line block ×3, first 2 shown]
	v_add_co_u32 v84, vcc_lo, v99, v24
	v_add_co_ci_u32_e32 v85, vcc_lo, v100, v25, vcc_lo
	v_mul_f64 v[24:25], v[18:19], v[22:23]
	v_mul_f64 v[22:23], v[52:53], v[22:23]
	s_waitcnt vmcnt(1)
	v_mul_f64 v[90:91], v[10:11], v[36:37]
	v_mul_f64 v[36:37], v[48:49], v[36:37]
	s_waitcnt vmcnt(0)
	v_mul_f64 v[92:93], v[12:13], v[40:41]
	s_waitcnt lgkmcnt(0)
	v_mul_f64 v[40:41], v[58:59], v[40:41]
	v_mul_f64 v[88:89], v[14:15], v[32:33]
	;; [unrolled: 1-line block ×3, first 2 shown]
	v_mov_b32_e32 v71, v79
	v_mov_b32_e32 v73, v81
	v_mad_u64_u32 v[94:95], null, s3, v94, v[69:70]
	v_lshlrev_b64 v[64:65], 4, v[64:65]
	v_mad_u64_u32 v[95:96], null, s3, v96, v[71:72]
	v_mad_u64_u32 v[96:97], null, s3, v97, v[73:74]
	v_mov_b32_e32 v73, v82
	v_lshlrev_b64 v[66:67], 4, v[66:67]
	v_add_co_u32 v62, vcc_lo, v99, v62
	v_mov_b32_e32 v75, v70
	v_fma_f64 v[24:25], v[52:53], v[20:21], -v[24:25]
	v_fma_f64 v[18:19], v[18:19], v[20:21], v[22:23]
	v_fma_f64 v[20:21], v[50:51], v[26:27], -v[86:87]
	v_fma_f64 v[22:23], v[48:49], v[34:35], -v[90:91]
	v_fma_f64 v[34:35], v[10:11], v[34:35], v[36:37]
	v_fma_f64 v[36:37], v[58:59], v[38:39], -v[92:93]
	v_fma_f64 v[38:39], v[12:13], v[38:39], v[40:41]
	;; [unrolled: 2-line block ×3, first 2 shown]
	v_fma_f64 v[30:31], v[16:17], v[26:27], v[28:29]
	v_add_co_ci_u32_e32 v63, vcc_lo, v100, v63, vcc_lo
	v_add_co_u32 v64, vcc_lo, v99, v64
	v_lshlrev_b64 v[32:33], 4, v[72:73]
	v_mov_b32_e32 v77, v83
	v_mov_b32_e32 v69, v94
	v_add_co_ci_u32_e32 v65, vcc_lo, v100, v65, vcc_lo
	v_add_co_u32 v48, vcc_lo, v99, v66
	v_lshlrev_b64 v[50:51], 4, v[74:75]
	v_add_f64 v[12:13], v[46:47], -v[24:25]
	v_add_f64 v[10:11], v[8:9], -v[18:19]
	;; [unrolled: 1-line block ×10, first 2 shown]
	v_add_co_ci_u32_e32 v49, vcc_lo, v100, v67, vcc_lo
	v_lshlrev_b64 v[52:53], 4, v[76:77]
	v_lshlrev_b64 v[58:59], 4, v[68:69]
	v_add_co_u32 v68, vcc_lo, v99, v32
	v_mov_b32_e32 v79, v95
	v_add_co_ci_u32_e32 v69, vcc_lo, v100, v33, vcc_lo
	v_add_co_u32 v50, vcc_lo, v99, v50
	v_mov_b32_e32 v81, v96
	v_fma_f64 v[32:33], v[46:47], 2.0, -v[12:13]
	v_fma_f64 v[30:31], v[8:9], 2.0, -v[10:11]
	;; [unrolled: 1-line block ×10, first 2 shown]
	v_add_co_ci_u32_e32 v51, vcc_lo, v100, v51, vcc_lo
	v_lshlrev_b64 v[60:61], 4, v[78:79]
	v_add_co_u32 v4, vcc_lo, v99, v52
	v_add_co_ci_u32_e32 v5, vcc_lo, v100, v53, vcc_lo
	v_lshlrev_b64 v[66:67], 4, v[80:81]
	v_add_co_u32 v42, vcc_lo, v99, v58
	v_add_co_ci_u32_e32 v43, vcc_lo, v100, v59, vcc_lo
	v_add_co_u32 v44, vcc_lo, v99, v60
	v_add_co_ci_u32_e32 v45, vcc_lo, v100, v61, vcc_lo
	;; [unrolled: 2-line block ×3, first 2 shown]
	global_store_dwordx4 v[84:85], v[34:37], off
	global_store_dwordx4 v[64:65], v[18:21], off
	;; [unrolled: 1-line block ×10, first 2 shown]
.LBB0_25:
	s_endpgm
	.section	.rodata,"a",@progbits
	.p2align	6, 0x0
	.amdhsa_kernel fft_rtc_back_len1540_factors_11_2_7_5_2_wgs_154_tpt_154_halfLds_dp_ip_CI_sbrr_dirReg
		.amdhsa_group_segment_fixed_size 0
		.amdhsa_private_segment_fixed_size 0
		.amdhsa_kernarg_size 88
		.amdhsa_user_sgpr_count 6
		.amdhsa_user_sgpr_private_segment_buffer 1
		.amdhsa_user_sgpr_dispatch_ptr 0
		.amdhsa_user_sgpr_queue_ptr 0
		.amdhsa_user_sgpr_kernarg_segment_ptr 1
		.amdhsa_user_sgpr_dispatch_id 0
		.amdhsa_user_sgpr_flat_scratch_init 0
		.amdhsa_user_sgpr_private_segment_size 0
		.amdhsa_wavefront_size32 1
		.amdhsa_uses_dynamic_stack 0
		.amdhsa_system_sgpr_private_segment_wavefront_offset 0
		.amdhsa_system_sgpr_workgroup_id_x 1
		.amdhsa_system_sgpr_workgroup_id_y 0
		.amdhsa_system_sgpr_workgroup_id_z 0
		.amdhsa_system_sgpr_workgroup_info 0
		.amdhsa_system_vgpr_workitem_id 0
		.amdhsa_next_free_vgpr 132
		.amdhsa_next_free_sgpr 40
		.amdhsa_reserve_vcc 1
		.amdhsa_reserve_flat_scratch 0
		.amdhsa_float_round_mode_32 0
		.amdhsa_float_round_mode_16_64 0
		.amdhsa_float_denorm_mode_32 3
		.amdhsa_float_denorm_mode_16_64 3
		.amdhsa_dx10_clamp 1
		.amdhsa_ieee_mode 1
		.amdhsa_fp16_overflow 0
		.amdhsa_workgroup_processor_mode 1
		.amdhsa_memory_ordered 1
		.amdhsa_forward_progress 0
		.amdhsa_shared_vgpr_count 0
		.amdhsa_exception_fp_ieee_invalid_op 0
		.amdhsa_exception_fp_denorm_src 0
		.amdhsa_exception_fp_ieee_div_zero 0
		.amdhsa_exception_fp_ieee_overflow 0
		.amdhsa_exception_fp_ieee_underflow 0
		.amdhsa_exception_fp_ieee_inexact 0
		.amdhsa_exception_int_div_zero 0
	.end_amdhsa_kernel
	.text
.Lfunc_end0:
	.size	fft_rtc_back_len1540_factors_11_2_7_5_2_wgs_154_tpt_154_halfLds_dp_ip_CI_sbrr_dirReg, .Lfunc_end0-fft_rtc_back_len1540_factors_11_2_7_5_2_wgs_154_tpt_154_halfLds_dp_ip_CI_sbrr_dirReg
                                        ; -- End function
	.section	.AMDGPU.csdata,"",@progbits
; Kernel info:
; codeLenInByte = 11640
; NumSgprs: 42
; NumVgprs: 132
; ScratchSize: 0
; MemoryBound: 1
; FloatMode: 240
; IeeeMode: 1
; LDSByteSize: 0 bytes/workgroup (compile time only)
; SGPRBlocks: 5
; VGPRBlocks: 16
; NumSGPRsForWavesPerEU: 42
; NumVGPRsForWavesPerEU: 132
; Occupancy: 7
; WaveLimiterHint : 1
; COMPUTE_PGM_RSRC2:SCRATCH_EN: 0
; COMPUTE_PGM_RSRC2:USER_SGPR: 6
; COMPUTE_PGM_RSRC2:TRAP_HANDLER: 0
; COMPUTE_PGM_RSRC2:TGID_X_EN: 1
; COMPUTE_PGM_RSRC2:TGID_Y_EN: 0
; COMPUTE_PGM_RSRC2:TGID_Z_EN: 0
; COMPUTE_PGM_RSRC2:TIDIG_COMP_CNT: 0
	.text
	.p2alignl 6, 3214868480
	.fill 48, 4, 3214868480
	.type	__hip_cuid_611558fb384bc65c,@object ; @__hip_cuid_611558fb384bc65c
	.section	.bss,"aw",@nobits
	.globl	__hip_cuid_611558fb384bc65c
__hip_cuid_611558fb384bc65c:
	.byte	0                               ; 0x0
	.size	__hip_cuid_611558fb384bc65c, 1

	.ident	"AMD clang version 19.0.0git (https://github.com/RadeonOpenCompute/llvm-project roc-6.4.0 25133 c7fe45cf4b819c5991fe208aaa96edf142730f1d)"
	.section	".note.GNU-stack","",@progbits
	.addrsig
	.addrsig_sym __hip_cuid_611558fb384bc65c
	.amdgpu_metadata
---
amdhsa.kernels:
  - .args:
      - .actual_access:  read_only
        .address_space:  global
        .offset:         0
        .size:           8
        .value_kind:     global_buffer
      - .offset:         8
        .size:           8
        .value_kind:     by_value
      - .actual_access:  read_only
        .address_space:  global
        .offset:         16
        .size:           8
        .value_kind:     global_buffer
      - .actual_access:  read_only
        .address_space:  global
        .offset:         24
        .size:           8
        .value_kind:     global_buffer
      - .offset:         32
        .size:           8
        .value_kind:     by_value
      - .actual_access:  read_only
        .address_space:  global
        .offset:         40
        .size:           8
        .value_kind:     global_buffer
      - .actual_access:  read_only
        .address_space:  global
        .offset:         48
        .size:           8
        .value_kind:     global_buffer
      - .offset:         56
        .size:           4
        .value_kind:     by_value
      - .actual_access:  read_only
        .address_space:  global
        .offset:         64
        .size:           8
        .value_kind:     global_buffer
      - .actual_access:  read_only
        .address_space:  global
        .offset:         72
        .size:           8
        .value_kind:     global_buffer
      - .address_space:  global
        .offset:         80
        .size:           8
        .value_kind:     global_buffer
    .group_segment_fixed_size: 0
    .kernarg_segment_align: 8
    .kernarg_segment_size: 88
    .language:       OpenCL C
    .language_version:
      - 2
      - 0
    .max_flat_workgroup_size: 154
    .name:           fft_rtc_back_len1540_factors_11_2_7_5_2_wgs_154_tpt_154_halfLds_dp_ip_CI_sbrr_dirReg
    .private_segment_fixed_size: 0
    .sgpr_count:     42
    .sgpr_spill_count: 0
    .symbol:         fft_rtc_back_len1540_factors_11_2_7_5_2_wgs_154_tpt_154_halfLds_dp_ip_CI_sbrr_dirReg.kd
    .uniform_work_group_size: 1
    .uses_dynamic_stack: false
    .vgpr_count:     132
    .vgpr_spill_count: 0
    .wavefront_size: 32
    .workgroup_processor_mode: 1
amdhsa.target:   amdgcn-amd-amdhsa--gfx1030
amdhsa.version:
  - 1
  - 2
...

	.end_amdgpu_metadata
